;; amdgpu-corpus repo=ROCm/rocm-examples kind=compiled arch=gfx906 opt=O3
	.amdgcn_target "amdgcn-amd-amdhsa--gfx906"
	.amdhsa_code_object_version 6
	.text
	.protected	_Z21matrix_multiply_naivePfS_S_iii ; -- Begin function _Z21matrix_multiply_naivePfS_S_iii
	.globl	_Z21matrix_multiply_naivePfS_S_iii
	.p2align	8
	.type	_Z21matrix_multiply_naivePfS_S_iii,@function
_Z21matrix_multiply_naivePfS_S_iii:     ; @_Z21matrix_multiply_naivePfS_S_iii
; %bb.0:
	s_load_dword s0, s[4:5], 0x34
	s_load_dwordx4 s[8:11], s[4:5], 0x18
	s_waitcnt lgkmcnt(0)
	s_lshr_b32 s1, s0, 16
	s_and_b32 s0, s0, 0xffff
	s_mul_i32 s6, s6, s0
	s_mul_i32 s7, s7, s1
	v_add_u32_e32 v0, s6, v0
	v_add_u32_e32 v5, s7, v1
	v_cmp_gt_i32_e32 vcc, s9, v0
	v_cmp_gt_i32_e64 s[0:1], s8, v5
	s_and_b64 s[0:1], vcc, s[0:1]
	s_and_saveexec_b64 s[2:3], s[0:1]
	s_cbranch_execz .LBB0_6
; %bb.1:
	s_load_dwordx4 s[0:3], s[4:5], 0x0
	s_load_dwordx2 s[6:7], s[4:5], 0x10
	s_cmp_lt_i32 s10, 1
	s_cbranch_scc1 .LBB0_4
; %bb.2:
	v_mul_lo_u32 v1, v5, s10
	s_waitcnt lgkmcnt(0)
	v_mov_b32_e32 v3, s1
	v_mov_b32_e32 v6, 0
	;; [unrolled: 1-line block ×3, first 2 shown]
	v_ashrrev_i32_e32 v2, 31, v1
	v_lshlrev_b64 v[1:2], 2, v[1:2]
	v_add_co_u32_e32 v1, vcc, s0, v1
	v_addc_co_u32_e32 v2, vcc, v3, v2, vcc
	v_mov_b32_e32 v3, v0
.LBB0_3:                                ; =>This Inner Loop Header: Depth=1
	v_ashrrev_i32_e32 v4, 31, v3
	v_lshlrev_b64 v[8:9], 2, v[3:4]
	global_load_dword v10, v[1:2], off
	v_add_co_u32_e32 v8, vcc, s2, v8
	v_addc_co_u32_e32 v9, vcc, v7, v9, vcc
	global_load_dword v4, v[8:9], off
	s_add_i32 s10, s10, -1
	v_add_co_u32_e32 v1, vcc, 4, v1
	v_addc_co_u32_e32 v2, vcc, 0, v2, vcc
	v_add_u32_e32 v3, s9, v3
	s_cmp_eq_u32 s10, 0
	s_waitcnt vmcnt(0)
	v_fmac_f32_e32 v6, v10, v4
	s_cbranch_scc0 .LBB0_3
	s_branch .LBB0_5
.LBB0_4:
	v_mov_b32_e32 v6, 0
.LBB0_5:
	s_waitcnt lgkmcnt(0)
	v_mad_u64_u32 v[0:1], s[0:1], v5, s9, v[0:1]
	v_mov_b32_e32 v2, s7
	v_ashrrev_i32_e32 v1, 31, v0
	v_lshlrev_b64 v[0:1], 2, v[0:1]
	v_add_co_u32_e32 v0, vcc, s6, v0
	v_addc_co_u32_e32 v1, vcc, v2, v1, vcc
	global_store_dword v[0:1], v6, off
.LBB0_6:
	s_endpgm
	.section	.rodata,"a",@progbits
	.p2align	6, 0x0
	.amdhsa_kernel _Z21matrix_multiply_naivePfS_S_iii
		.amdhsa_group_segment_fixed_size 0
		.amdhsa_private_segment_fixed_size 0
		.amdhsa_kernarg_size 296
		.amdhsa_user_sgpr_count 6
		.amdhsa_user_sgpr_private_segment_buffer 1
		.amdhsa_user_sgpr_dispatch_ptr 0
		.amdhsa_user_sgpr_queue_ptr 0
		.amdhsa_user_sgpr_kernarg_segment_ptr 1
		.amdhsa_user_sgpr_dispatch_id 0
		.amdhsa_user_sgpr_flat_scratch_init 0
		.amdhsa_user_sgpr_private_segment_size 0
		.amdhsa_uses_dynamic_stack 0
		.amdhsa_system_sgpr_private_segment_wavefront_offset 0
		.amdhsa_system_sgpr_workgroup_id_x 1
		.amdhsa_system_sgpr_workgroup_id_y 1
		.amdhsa_system_sgpr_workgroup_id_z 0
		.amdhsa_system_sgpr_workgroup_info 0
		.amdhsa_system_vgpr_workitem_id 1
		.amdhsa_next_free_vgpr 11
		.amdhsa_next_free_sgpr 12
		.amdhsa_reserve_vcc 1
		.amdhsa_reserve_flat_scratch 0
		.amdhsa_float_round_mode_32 0
		.amdhsa_float_round_mode_16_64 0
		.amdhsa_float_denorm_mode_32 3
		.amdhsa_float_denorm_mode_16_64 3
		.amdhsa_dx10_clamp 1
		.amdhsa_ieee_mode 1
		.amdhsa_fp16_overflow 0
		.amdhsa_exception_fp_ieee_invalid_op 0
		.amdhsa_exception_fp_denorm_src 0
		.amdhsa_exception_fp_ieee_div_zero 0
		.amdhsa_exception_fp_ieee_overflow 0
		.amdhsa_exception_fp_ieee_underflow 0
		.amdhsa_exception_fp_ieee_inexact 0
		.amdhsa_exception_int_div_zero 0
	.end_amdhsa_kernel
	.text
.Lfunc_end0:
	.size	_Z21matrix_multiply_naivePfS_S_iii, .Lfunc_end0-_Z21matrix_multiply_naivePfS_S_iii
                                        ; -- End function
	.set _Z21matrix_multiply_naivePfS_S_iii.num_vgpr, 11
	.set _Z21matrix_multiply_naivePfS_S_iii.num_agpr, 0
	.set _Z21matrix_multiply_naivePfS_S_iii.numbered_sgpr, 12
	.set _Z21matrix_multiply_naivePfS_S_iii.num_named_barrier, 0
	.set _Z21matrix_multiply_naivePfS_S_iii.private_seg_size, 0
	.set _Z21matrix_multiply_naivePfS_S_iii.uses_vcc, 1
	.set _Z21matrix_multiply_naivePfS_S_iii.uses_flat_scratch, 0
	.set _Z21matrix_multiply_naivePfS_S_iii.has_dyn_sized_stack, 0
	.set _Z21matrix_multiply_naivePfS_S_iii.has_recursion, 0
	.set _Z21matrix_multiply_naivePfS_S_iii.has_indirect_call, 0
	.section	.AMDGPU.csdata,"",@progbits
; Kernel info:
; codeLenInByte = 268
; TotalNumSgprs: 16
; NumVgprs: 11
; ScratchSize: 0
; MemoryBound: 0
; FloatMode: 240
; IeeeMode: 1
; LDSByteSize: 0 bytes/workgroup (compile time only)
; SGPRBlocks: 1
; VGPRBlocks: 2
; NumSGPRsForWavesPerEU: 16
; NumVGPRsForWavesPerEU: 11
; Occupancy: 10
; WaveLimiterHint : 0
; COMPUTE_PGM_RSRC2:SCRATCH_EN: 0
; COMPUTE_PGM_RSRC2:USER_SGPR: 6
; COMPUTE_PGM_RSRC2:TRAP_HANDLER: 0
; COMPUTE_PGM_RSRC2:TGID_X_EN: 1
; COMPUTE_PGM_RSRC2:TGID_Y_EN: 1
; COMPUTE_PGM_RSRC2:TGID_Z_EN: 0
; COMPUTE_PGM_RSRC2:TIDIG_COMP_CNT: 1
	.text
	.protected	_Z26matrix_multiply_lds_tilingPfS_S_iii ; -- Begin function _Z26matrix_multiply_lds_tilingPfS_S_iii
	.globl	_Z26matrix_multiply_lds_tilingPfS_S_iii
	.p2align	8
	.type	_Z26matrix_multiply_lds_tilingPfS_S_iii,@function
_Z26matrix_multiply_lds_tilingPfS_S_iii: ; @_Z26matrix_multiply_lds_tilingPfS_S_iii
; %bb.0:
	s_load_dwordx4 s[8:11], s[4:5], 0x18
	s_load_dwordx4 s[12:15], s[4:5], 0x0
	s_load_dwordx2 s[16:17], s[4:5], 0x10
	s_lshl_b32 s2, s6, 4
	v_lshl_add_u32 v5, s7, 4, v1
	v_add_u32_e32 v2, s2, v0
	s_waitcnt lgkmcnt(0)
	s_cmp_lt_i32 s10, 1
	v_cmp_gt_i32_e32 vcc, s8, v5
	v_cmp_gt_i32_e64 s[0:1], s9, v2
	s_cbranch_scc1 .LBB1_7
; %bb.1:
	v_mul_lo_u32 v4, v1, s9
	v_mul_lo_u32 v9, s10, v5
	v_lshlrev_b32_e32 v3, 2, v0
	s_add_i32 s3, s10, 15
	v_lshlrev_b32_e32 v7, 6, v1
	v_add_u32_e32 v10, 0x400, v3
	s_lshr_b32 s6, s3, 4
	v_add_u32_e32 v8, v7, v3
	v_add_u32_e32 v11, v10, v7
	v_add3_u32 v3, v0, v4, s2
	s_lshl_b32 s7, s9, 4
	v_mov_b32_e32 v6, 0
	s_branch .LBB1_3
.LBB1_2:                                ;   in Loop: Header=BB1_3 Depth=1
	s_or_b64 exec, exec, s[4:5]
	s_waitcnt vmcnt(0)
	ds_write_b32 v11, v4
	s_waitcnt lgkmcnt(0)
	s_barrier
	ds_read_b128 v[12:15], v7
	ds_read2_b32 v[20:21], v10 offset1:16
	ds_read2_b32 v[22:23], v10 offset0:32 offset1:48
	ds_read_b128 v[16:19], v7 offset:16
	ds_read2_b32 v[24:25], v10 offset0:64 offset1:80
	s_add_i32 s6, s6, -1
	s_waitcnt lgkmcnt(3)
	v_fmac_f32_e32 v6, v12, v20
	v_fmac_f32_e32 v6, v13, v21
	s_waitcnt lgkmcnt(2)
	v_fmac_f32_e32 v6, v14, v22
	v_fmac_f32_e32 v6, v15, v23
	ds_read2_b32 v[26:27], v10 offset0:96 offset1:112
	ds_read_b128 v[12:15], v7 offset:32
	ds_read_b128 v[20:23], v7 offset:48
	ds_read2_b32 v[28:29], v10 offset0:128 offset1:144
	s_waitcnt lgkmcnt(4)
	v_fmac_f32_e32 v6, v16, v24
	v_fmac_f32_e32 v6, v17, v25
	ds_read2_b32 v[16:17], v10 offset0:160 offset1:176
	s_waitcnt lgkmcnt(4)
	v_fmac_f32_e32 v6, v18, v26
	v_fmac_f32_e32 v6, v19, v27
	;; [unrolled: 4-line block ×4, first 2 shown]
	s_waitcnt lgkmcnt(1)
	v_fmac_f32_e32 v6, v20, v18
	v_fmac_f32_e32 v6, v21, v19
	s_waitcnt lgkmcnt(0)
	v_fmac_f32_e32 v6, v22, v12
	v_fmac_f32_e32 v6, v23, v13
	v_add_u32_e32 v0, 16, v0
	v_add_u32_e32 v3, s7, v3
	s_cmp_eq_u32 s6, 0
	v_add_u32_e32 v1, 16, v1
	s_barrier
	s_cbranch_scc1 .LBB1_8
.LBB1_3:                                ; =>This Inner Loop Header: Depth=1
	v_cmp_gt_i32_e64 s[2:3], s10, v0
	s_and_b64 s[2:3], vcc, s[2:3]
	v_mov_b32_e32 v4, 0
	s_and_saveexec_b64 s[4:5], s[2:3]
	s_cbranch_execz .LBB1_5
; %bb.4:                                ;   in Loop: Header=BB1_3 Depth=1
	v_add_u32_e32 v12, v9, v0
	v_ashrrev_i32_e32 v13, 31, v12
	v_lshlrev_b64 v[12:13], 2, v[12:13]
	v_mov_b32_e32 v4, s13
	v_add_co_u32_e64 v12, s[2:3], s12, v12
	v_addc_co_u32_e64 v13, s[2:3], v4, v13, s[2:3]
	global_load_dword v4, v[12:13], off
.LBB1_5:                                ;   in Loop: Header=BB1_3 Depth=1
	s_or_b64 exec, exec, s[4:5]
	v_cmp_gt_i32_e64 s[2:3], s10, v1
	s_waitcnt vmcnt(0)
	ds_write_b32 v8, v4
	s_and_b64 s[2:3], s[0:1], s[2:3]
	v_mov_b32_e32 v4, 0
	s_and_saveexec_b64 s[4:5], s[2:3]
	s_cbranch_execz .LBB1_2
; %bb.6:                                ;   in Loop: Header=BB1_3 Depth=1
	v_ashrrev_i32_e32 v4, 31, v3
	v_lshlrev_b64 v[12:13], 2, v[3:4]
	v_mov_b32_e32 v4, s15
	v_add_co_u32_e64 v12, s[2:3], s14, v12
	v_addc_co_u32_e64 v13, s[2:3], v4, v13, s[2:3]
	global_load_dword v4, v[12:13], off
	s_branch .LBB1_2
.LBB1_7:
	v_mov_b32_e32 v6, 0
.LBB1_8:
	v_cmp_gt_i32_e32 vcc, s8, v5
	v_cmp_gt_i32_e64 s[0:1], s9, v2
	s_and_b64 s[0:1], vcc, s[0:1]
	s_and_saveexec_b64 s[2:3], s[0:1]
	s_cbranch_execz .LBB1_10
; %bb.9:
	v_mad_u64_u32 v[0:1], s[0:1], s9, v5, v[2:3]
	v_mov_b32_e32 v2, s17
	v_ashrrev_i32_e32 v1, 31, v0
	v_lshlrev_b64 v[0:1], 2, v[0:1]
	v_add_co_u32_e32 v0, vcc, s16, v0
	v_addc_co_u32_e32 v1, vcc, v2, v1, vcc
	global_store_dword v[0:1], v6, off
.LBB1_10:
	s_endpgm
	.section	.rodata,"a",@progbits
	.p2align	6, 0x0
	.amdhsa_kernel _Z26matrix_multiply_lds_tilingPfS_S_iii
		.amdhsa_group_segment_fixed_size 2048
		.amdhsa_private_segment_fixed_size 0
		.amdhsa_kernarg_size 36
		.amdhsa_user_sgpr_count 6
		.amdhsa_user_sgpr_private_segment_buffer 1
		.amdhsa_user_sgpr_dispatch_ptr 0
		.amdhsa_user_sgpr_queue_ptr 0
		.amdhsa_user_sgpr_kernarg_segment_ptr 1
		.amdhsa_user_sgpr_dispatch_id 0
		.amdhsa_user_sgpr_flat_scratch_init 0
		.amdhsa_user_sgpr_private_segment_size 0
		.amdhsa_uses_dynamic_stack 0
		.amdhsa_system_sgpr_private_segment_wavefront_offset 0
		.amdhsa_system_sgpr_workgroup_id_x 1
		.amdhsa_system_sgpr_workgroup_id_y 1
		.amdhsa_system_sgpr_workgroup_id_z 0
		.amdhsa_system_sgpr_workgroup_info 0
		.amdhsa_system_vgpr_workitem_id 1
		.amdhsa_next_free_vgpr 30
		.amdhsa_next_free_sgpr 61
		.amdhsa_reserve_vcc 1
		.amdhsa_reserve_flat_scratch 0
		.amdhsa_float_round_mode_32 0
		.amdhsa_float_round_mode_16_64 0
		.amdhsa_float_denorm_mode_32 3
		.amdhsa_float_denorm_mode_16_64 3
		.amdhsa_dx10_clamp 1
		.amdhsa_ieee_mode 1
		.amdhsa_fp16_overflow 0
		.amdhsa_exception_fp_ieee_invalid_op 0
		.amdhsa_exception_fp_denorm_src 0
		.amdhsa_exception_fp_ieee_div_zero 0
		.amdhsa_exception_fp_ieee_overflow 0
		.amdhsa_exception_fp_ieee_underflow 0
		.amdhsa_exception_fp_ieee_inexact 0
		.amdhsa_exception_int_div_zero 0
	.end_amdhsa_kernel
	.text
.Lfunc_end1:
	.size	_Z26matrix_multiply_lds_tilingPfS_S_iii, .Lfunc_end1-_Z26matrix_multiply_lds_tilingPfS_S_iii
                                        ; -- End function
	.set _Z26matrix_multiply_lds_tilingPfS_S_iii.num_vgpr, 30
	.set _Z26matrix_multiply_lds_tilingPfS_S_iii.num_agpr, 0
	.set _Z26matrix_multiply_lds_tilingPfS_S_iii.numbered_sgpr, 18
	.set _Z26matrix_multiply_lds_tilingPfS_S_iii.num_named_barrier, 0
	.set _Z26matrix_multiply_lds_tilingPfS_S_iii.private_seg_size, 0
	.set _Z26matrix_multiply_lds_tilingPfS_S_iii.uses_vcc, 1
	.set _Z26matrix_multiply_lds_tilingPfS_S_iii.uses_flat_scratch, 0
	.set _Z26matrix_multiply_lds_tilingPfS_S_iii.has_dyn_sized_stack, 0
	.set _Z26matrix_multiply_lds_tilingPfS_S_iii.has_recursion, 0
	.set _Z26matrix_multiply_lds_tilingPfS_S_iii.has_indirect_call, 0
	.section	.AMDGPU.csdata,"",@progbits
; Kernel info:
; codeLenInByte = 600
; TotalNumSgprs: 22
; NumVgprs: 30
; ScratchSize: 0
; MemoryBound: 0
; FloatMode: 240
; IeeeMode: 1
; LDSByteSize: 2048 bytes/workgroup (compile time only)
; SGPRBlocks: 8
; VGPRBlocks: 7
; NumSGPRsForWavesPerEU: 65
; NumVGPRsForWavesPerEU: 30
; Occupancy: 8
; WaveLimiterHint : 0
; COMPUTE_PGM_RSRC2:SCRATCH_EN: 0
; COMPUTE_PGM_RSRC2:USER_SGPR: 6
; COMPUTE_PGM_RSRC2:TRAP_HANDLER: 0
; COMPUTE_PGM_RSRC2:TGID_X_EN: 1
; COMPUTE_PGM_RSRC2:TGID_Y_EN: 1
; COMPUTE_PGM_RSRC2:TGID_Z_EN: 0
; COMPUTE_PGM_RSRC2:TIDIG_COMP_CNT: 1
	.text
	.protected	_Z31matrix_multiply_register_tilingPfS_S_iii ; -- Begin function _Z31matrix_multiply_register_tilingPfS_S_iii
	.globl	_Z31matrix_multiply_register_tilingPfS_S_iii
	.p2align	8
	.type	_Z31matrix_multiply_register_tilingPfS_S_iii,@function
_Z31matrix_multiply_register_tilingPfS_S_iii: ; @_Z31matrix_multiply_register_tilingPfS_S_iii
; %bb.0:
	s_mov_b64 s[58:59], s[2:3]
	s_mov_b64 s[56:57], s[0:1]
	s_load_dword s0, s[4:5], 0x34
	s_load_dwordx4 s[40:43], s[4:5], 0x18
	s_load_dwordx4 s[44:47], s[4:5], 0x0
	s_load_dwordx2 s[38:39], s[4:5], 0x10
	s_add_u32 s56, s56, s8
	s_addc_u32 s57, s57, 0
	s_waitcnt lgkmcnt(0)
	s_and_b32 s0, s0, 0xffff
	v_mad_u32_u24 v0, v1, s0, v0
	v_and_b32_e32 v1, 60, v0
	v_lshrrev_b32_e32 v2, 1, v0
	s_mov_b32 s0, 0x3ffffc0
	v_and_or_b32 v6, v2, s0, v1
	v_lshlrev_b32_e32 v2, 2, v0
	v_lshrrev_b32_e32 v1, 2, v0
	v_and_b32_e32 v2, 12, v2
	s_lshl_b32 s33, s7, 7
	s_lshl_b32 s43, s6, 5
	s_cmp_lt_i32 s42, 1
	v_and_or_b32 v7, v1, 16, v2
	buffer_store_dword v6, off, s[56:59], 0 offset:68 ; 4-byte Folded Spill
	buffer_store_dword v7, off, s[56:59], 0 offset:72 ; 4-byte Folded Spill
	s_cbranch_scc1 .LBB2_63
; %bb.1:
	v_and_b32_e32 v2, 31, v0
	v_and_b32_e32 v28, 15, v0
	v_or_b32_e32 v3, s43, v2
	v_lshlrev_b32_e32 v1, 2, v28
	v_mov_b32_e32 v4, 0x2800
	v_cmp_gt_i32_e32 vcc, s41, v3
	s_movk_i32 s34, 0x50
	v_lshrrev_b32_e32 v3, 4, v0
	v_lshl_or_b32 v5, v2, 2, v4
	v_lshl_or_b32 v54, v7, 2, v4
	v_add_u32_e32 v4, s33, v3
	v_mad_u32_u24 v3, v3, s34, v1
	buffer_store_dword v3, off, s[56:59], 0 ; 4-byte Folded Spill
	v_add_u32_e32 v3, 0x100, v0
	v_mul_lo_u32 v53, v6, s34
	v_lshrrev_b32_e32 v6, 4, v3
	v_add_u32_e32 v7, s33, v6
	v_mad_u32_u24 v57, v6, s34, v1
	v_add_u32_e32 v6, 0x200, v0
	v_lshrrev_b32_e32 v6, 4, v6
	v_add_u32_e32 v8, s33, v6
	v_mad_u32_u24 v58, v6, s34, v1
	v_add_u32_e32 v6, 0x300, v0
	;; [unrolled: 4-line block ×6, first 2 shown]
	v_lshrrev_b32_e32 v6, 4, v6
	v_lshrrev_b32_e32 v49, 5, v0
	s_movk_i32 s2, 0x800
	s_movk_i32 s30, 0x100
	;; [unrolled: 1-line block ×8, first 2 shown]
	v_add_u32_e32 v13, s33, v6
	v_lshl_add_u32 v29, v49, 7, v5
	v_cmp_gt_u32_e64 s[2:3], s2, v0
	v_cmp_gt_u32_e64 s[6:7], s6, v0
	;; [unrolled: 1-line block ×8, first 2 shown]
	v_mad_u32_u24 v48, v6, s34, v1
	v_mad_u64_u32 v[0:1], s[34:35], v13, s42, v[28:29]
	buffer_store_dword v0, off, s[56:59], 0 offset:4 ; 4-byte Folded Spill
	s_nop 0
	buffer_store_dword v1, off, s[56:59], 0 offset:8 ; 4-byte Folded Spill
	v_mad_u64_u32 v[0:1], s[34:35], v12, s42, v[28:29]
	buffer_store_dword v0, off, s[56:59], 0 offset:12 ; 4-byte Folded Spill
	s_nop 0
	buffer_store_dword v1, off, s[56:59], 0 offset:16 ; 4-byte Folded Spill
	;; [unrolled: 4-line block ×7, first 2 shown]
	v_mad_u64_u32 v[0:1], s[34:35], v4, s42, v[28:29]
	s_add_i32 s0, s42, 15
	v_lshrrev_b32_e32 v30, 5, v3
	s_lshr_b32 s50, s0, 4
	v_cmp_gt_i32_e64 s[0:1], s40, v4
	v_cmp_gt_i32_e64 s[4:5], s40, v7
	v_cmp_gt_i32_e64 s[8:9], s40, v8
	v_cmp_gt_i32_e64 s[12:13], s40, v9
	v_cmp_gt_i32_e64 s[16:17], s40, v10
	v_cmp_gt_i32_e64 s[20:21], s40, v11
	v_cmp_gt_i32_e64 s[24:25], s40, v12
	v_cmp_gt_i32_e64 s[28:29], s40, v13
	v_lshl_add_u32 v31, v30, 7, v5
	v_add_u32_e32 v32, s43, v2
	s_lshl_b32 s51, s41, 4
	s_mov_b32 s52, 0
	v_mov_b32_e32 v33, 0
	v_mov_b32_e32 v59, 0
	;; [unrolled: 1-line block ×17, first 2 shown]
	buffer_store_dword v0, off, s[56:59], 0 offset:60 ; 4-byte Folded Spill
	s_nop 0
	buffer_store_dword v1, off, s[56:59], 0 offset:64 ; 4-byte Folded Spill
	s_branch .LBB2_3
.LBB2_2:                                ;   in Loop: Header=BB2_3 Depth=1
	s_or_b64 exec, exec, s[36:37]
	s_waitcnt vmcnt(0) lgkmcnt(0)
	s_barrier
	ds_read_b128 v[12:15], v53
	ds_read_b128 v[8:11], v53 offset:16
	ds_read_b128 v[0:3], v54
	ds_read_b128 v[4:7], v53 offset:32
	ds_read_b128 v[24:27], v53 offset:80
	;; [unrolled: 1-line block ×5, first 2 shown]
	s_waitcnt lgkmcnt(5)
	v_fmac_f32_e32 v59, v12, v0
	v_fmac_f32_e32 v55, v12, v1
	v_fmac_f32_e32 v52, v12, v2
	v_fmac_f32_e32 v51, v12, v3
	s_waitcnt lgkmcnt(3)
	v_fmac_f32_e32 v50, v24, v0
	v_fmac_f32_e32 v47, v24, v1
	v_fmac_f32_e32 v46, v24, v2
	v_fmac_f32_e32 v45, v24, v3
	;; [unrolled: 5-line block ×4, first 2 shown]
	ds_read_b128 v[0:3], v54 offset:256
	s_waitcnt lgkmcnt(1)
	v_fmac_f32_e32 v59, v13, v60
	v_fmac_f32_e32 v55, v13, v61
	;; [unrolled: 1-line block ×16, first 2 shown]
	ds_read_b128 v[60:63], v54 offset:384
	s_waitcnt lgkmcnt(1)
	v_fmac_f32_e32 v59, v14, v0
	v_fmac_f32_e32 v55, v14, v1
	;; [unrolled: 1-line block ×16, first 2 shown]
	ds_read_b128 v[0:3], v53 offset:48
	s_waitcnt lgkmcnt(1)
	v_fmac_f32_e32 v59, v15, v60
	v_fmac_f32_e32 v55, v15, v61
	;; [unrolled: 1-line block ×15, first 2 shown]
	ds_read_b128 v[12:15], v54 offset:512
	v_fmac_f32_e32 v37, v19, v63
	ds_read_b128 v[20:23], v53 offset:96
	ds_read_b128 v[24:27], v53 offset:176
	;; [unrolled: 1-line block ×4, first 2 shown]
	s_add_i32 s50, s50, -1
	s_waitcnt lgkmcnt(4)
	v_fmac_f32_e32 v59, v8, v12
	v_fmac_f32_e32 v55, v8, v13
	v_fmac_f32_e32 v52, v8, v14
	v_fmac_f32_e32 v51, v8, v15
	s_waitcnt lgkmcnt(3)
	v_fmac_f32_e32 v50, v20, v12
	v_fmac_f32_e32 v47, v20, v13
	v_fmac_f32_e32 v46, v20, v14
	v_fmac_f32_e32 v45, v20, v15
	;; [unrolled: 5-line block ×4, first 2 shown]
	ds_read_b128 v[12:15], v54 offset:768
	s_waitcnt lgkmcnt(1)
	v_fmac_f32_e32 v59, v9, v60
	v_fmac_f32_e32 v55, v9, v61
	;; [unrolled: 1-line block ×16, first 2 shown]
	ds_read_b128 v[60:63], v54 offset:896
	s_waitcnt lgkmcnt(1)
	v_fmac_f32_e32 v59, v10, v12
	v_fmac_f32_e32 v55, v10, v13
	;; [unrolled: 1-line block ×16, first 2 shown]
	s_waitcnt lgkmcnt(0)
	v_fmac_f32_e32 v59, v11, v60
	v_fmac_f32_e32 v55, v11, v61
	;; [unrolled: 1-line block ×11, first 2 shown]
	ds_read_b128 v[20:23], v54 offset:1024
	v_fmac_f32_e32 v37, v19, v63
	ds_read_b128 v[16:19], v53 offset:112
	ds_read_b128 v[12:15], v53 offset:192
	;; [unrolled: 1-line block ×3, first 2 shown]
	v_fmac_f32_e32 v44, v27, v60
	v_fmac_f32_e32 v43, v27, v61
	;; [unrolled: 1-line block ×4, first 2 shown]
	ds_read_b128 v[24:27], v54 offset:1152
	s_waitcnt lgkmcnt(4)
	v_fmac_f32_e32 v59, v4, v20
	v_fmac_f32_e32 v55, v4, v21
	v_fmac_f32_e32 v52, v4, v22
	v_fmac_f32_e32 v51, v4, v23
	s_waitcnt lgkmcnt(3)
	v_fmac_f32_e32 v50, v16, v20
	v_fmac_f32_e32 v47, v16, v21
	v_fmac_f32_e32 v46, v16, v22
	v_fmac_f32_e32 v45, v16, v23
	;; [unrolled: 5-line block ×4, first 2 shown]
	ds_read_b128 v[20:23], v54 offset:1280
	s_waitcnt lgkmcnt(1)
	v_fmac_f32_e32 v59, v5, v24
	v_fmac_f32_e32 v55, v5, v25
	;; [unrolled: 1-line block ×16, first 2 shown]
	ds_read_b128 v[24:27], v54 offset:1408
	s_waitcnt lgkmcnt(1)
	v_fmac_f32_e32 v59, v6, v20
	v_fmac_f32_e32 v55, v6, v21
	;; [unrolled: 1-line block ×16, first 2 shown]
	s_waitcnt lgkmcnt(0)
	v_fmac_f32_e32 v59, v7, v24
	v_fmac_f32_e32 v55, v7, v25
	;; [unrolled: 1-line block ×15, first 2 shown]
	ds_read_b128 v[4:7], v54 offset:1536
	v_fmac_f32_e32 v37, v11, v27
	ds_read_b128 v[8:11], v53 offset:128
	ds_read_b128 v[12:15], v53 offset:208
	ds_read_b128 v[16:19], v53 offset:288
	ds_read_b128 v[20:23], v54 offset:1664
	s_add_i32 s52, s52, 16
	s_waitcnt lgkmcnt(4)
	v_fmac_f32_e32 v59, v0, v4
	v_fmac_f32_e32 v55, v0, v5
	v_fmac_f32_e32 v52, v0, v6
	v_fmac_f32_e32 v51, v0, v7
	s_waitcnt lgkmcnt(3)
	v_fmac_f32_e32 v50, v8, v4
	v_fmac_f32_e32 v47, v8, v5
	v_fmac_f32_e32 v46, v8, v6
	v_fmac_f32_e32 v45, v8, v7
	s_waitcnt lgkmcnt(2)
	v_fmac_f32_e32 v44, v12, v4
	v_fmac_f32_e32 v43, v12, v5
	v_fmac_f32_e32 v42, v12, v6
	v_fmac_f32_e32 v41, v12, v7
	s_waitcnt lgkmcnt(1)
	v_fmac_f32_e32 v40, v16, v4
	v_fmac_f32_e32 v39, v16, v5
	v_fmac_f32_e32 v38, v16, v6
	v_fmac_f32_e32 v37, v16, v7
	ds_read_b128 v[4:7], v54 offset:1792
	s_waitcnt lgkmcnt(1)
	v_fmac_f32_e32 v59, v1, v20
	v_fmac_f32_e32 v55, v1, v21
	;; [unrolled: 1-line block ×16, first 2 shown]
	ds_read_b128 v[20:23], v54 offset:1920
	s_waitcnt lgkmcnt(1)
	v_fmac_f32_e32 v59, v2, v4
	v_fmac_f32_e32 v55, v2, v5
	;; [unrolled: 1-line block ×16, first 2 shown]
	s_waitcnt lgkmcnt(0)
	v_fmac_f32_e32 v59, v3, v20
	v_fmac_f32_e32 v55, v3, v21
	;; [unrolled: 1-line block ×16, first 2 shown]
	s_cmp_eq_u32 s50, 0
	v_add_u32_e32 v32, s51, v32
	s_barrier
	s_cbranch_scc1 .LBB2_64
.LBB2_3:                                ; =>This Inner Loop Header: Depth=1
	v_add_u32_e32 v0, s52, v28
	v_cmp_gt_i32_e64 s[34:35], s42, v0
	s_and_b64 s[36:37], s[0:1], s[34:35]
	s_and_b64 s[36:37], s[36:37], s[2:3]
	s_xor_b64 s[36:37], s[36:37], -1
	s_and_saveexec_b64 s[48:49], s[36:37]
	s_xor_b64 s[36:37], exec, s[48:49]
	s_cbranch_execz .LBB2_7
; %bb.4:                                ;   in Loop: Header=BB2_3 Depth=1
	s_and_saveexec_b64 s[48:49], s[2:3]
	s_cbranch_execz .LBB2_6
; %bb.5:                                ;   in Loop: Header=BB2_3 Depth=1
	buffer_load_dword v0, off, s[56:59], 0  ; 4-byte Folded Reload
	s_waitcnt vmcnt(0)
	ds_write_b32 v0, v33
.LBB2_6:                                ;   in Loop: Header=BB2_3 Depth=1
	s_or_b64 exec, exec, s[48:49]
.LBB2_7:                                ;   in Loop: Header=BB2_3 Depth=1
	s_andn2_saveexec_b64 s[48:49], s[36:37]
	s_cbranch_execz .LBB2_9
; %bb.8:                                ;   in Loop: Header=BB2_3 Depth=1
	buffer_load_dword v0, off, s[56:59], 0 offset:60 ; 4-byte Folded Reload
	buffer_load_dword v1, off, s[56:59], 0 offset:64 ; 4-byte Folded Reload
	v_mov_b32_e32 v2, s45
	s_waitcnt vmcnt(1)
	v_add_u32_e32 v0, s52, v0
	s_waitcnt vmcnt(0)
	v_ashrrev_i32_e32 v1, 31, v0
	v_lshlrev_b64 v[0:1], 2, v[0:1]
	v_add_co_u32_e64 v0, s[36:37], s44, v0
	v_addc_co_u32_e64 v1, s[36:37], v2, v1, s[36:37]
	global_load_dword v0, v[0:1], off
	s_nop 0
	buffer_load_dword v1, off, s[56:59], 0  ; 4-byte Folded Reload
	s_waitcnt vmcnt(0)
	ds_write_b32 v1, v0
.LBB2_9:                                ;   in Loop: Header=BB2_3 Depth=1
	s_or_b64 exec, exec, s[48:49]
	s_and_b64 s[36:37], s[4:5], s[34:35]
	s_and_b64 s[36:37], s[36:37], s[6:7]
	s_xor_b64 s[36:37], s[36:37], -1
	s_and_saveexec_b64 s[48:49], s[36:37]
	s_xor_b64 s[36:37], exec, s[48:49]
	s_cbranch_execz .LBB2_13
; %bb.10:                               ;   in Loop: Header=BB2_3 Depth=1
	s_and_saveexec_b64 s[48:49], s[6:7]
; %bb.11:                               ;   in Loop: Header=BB2_3 Depth=1
	ds_write_b32 v57, v33
; %bb.12:                               ;   in Loop: Header=BB2_3 Depth=1
	s_or_b64 exec, exec, s[48:49]
.LBB2_13:                               ;   in Loop: Header=BB2_3 Depth=1
	s_andn2_saveexec_b64 s[48:49], s[36:37]
	s_cbranch_execz .LBB2_15
; %bb.14:                               ;   in Loop: Header=BB2_3 Depth=1
	buffer_load_dword v0, off, s[56:59], 0 offset:52 ; 4-byte Folded Reload
	buffer_load_dword v1, off, s[56:59], 0 offset:56 ; 4-byte Folded Reload
	v_mov_b32_e32 v2, s45
	s_waitcnt vmcnt(1)
	v_add_u32_e32 v0, s52, v0
	s_waitcnt vmcnt(0)
	v_ashrrev_i32_e32 v1, 31, v0
	v_lshlrev_b64 v[0:1], 2, v[0:1]
	v_add_co_u32_e64 v0, s[36:37], s44, v0
	v_addc_co_u32_e64 v1, s[36:37], v2, v1, s[36:37]
	global_load_dword v0, v[0:1], off
	s_waitcnt vmcnt(0)
	ds_write_b32 v57, v0
.LBB2_15:                               ;   in Loop: Header=BB2_3 Depth=1
	s_or_b64 exec, exec, s[48:49]
	s_and_b64 s[36:37], s[8:9], s[34:35]
	s_and_b64 s[36:37], s[36:37], s[10:11]
	s_xor_b64 s[36:37], s[36:37], -1
	s_and_saveexec_b64 s[48:49], s[36:37]
	s_xor_b64 s[36:37], exec, s[48:49]
	s_cbranch_execz .LBB2_19
; %bb.16:                               ;   in Loop: Header=BB2_3 Depth=1
	s_and_saveexec_b64 s[48:49], s[10:11]
; %bb.17:                               ;   in Loop: Header=BB2_3 Depth=1
	ds_write_b32 v58, v33
; %bb.18:                               ;   in Loop: Header=BB2_3 Depth=1
	s_or_b64 exec, exec, s[48:49]
.LBB2_19:                               ;   in Loop: Header=BB2_3 Depth=1
	s_andn2_saveexec_b64 s[48:49], s[36:37]
	s_cbranch_execz .LBB2_21
; %bb.20:                               ;   in Loop: Header=BB2_3 Depth=1
	buffer_load_dword v0, off, s[56:59], 0 offset:44 ; 4-byte Folded Reload
	buffer_load_dword v1, off, s[56:59], 0 offset:48 ; 4-byte Folded Reload
	v_mov_b32_e32 v2, s45
	s_waitcnt vmcnt(1)
	v_add_u32_e32 v0, s52, v0
	s_waitcnt vmcnt(0)
	v_ashrrev_i32_e32 v1, 31, v0
	v_lshlrev_b64 v[0:1], 2, v[0:1]
	v_add_co_u32_e64 v0, s[36:37], s44, v0
	v_addc_co_u32_e64 v1, s[36:37], v2, v1, s[36:37]
	global_load_dword v0, v[0:1], off
	s_waitcnt vmcnt(0)
	ds_write_b32 v58, v0
.LBB2_21:                               ;   in Loop: Header=BB2_3 Depth=1
	;; [unrolled: 31-line block ×7, first 2 shown]
	s_or_b64 exec, exec, s[36:37]
	v_add_u32_e32 v0, s52, v49
	v_cmp_gt_i32_e64 s[34:35], s42, v0
	s_and_b64 s[34:35], s[34:35], vcc
	s_and_b64 s[34:35], s[34:35], s[26:27]
	s_xor_b64 s[34:35], s[34:35], -1
	s_and_saveexec_b64 s[36:37], s[34:35]
	s_xor_b64 s[34:35], exec, s[36:37]
	s_cbranch_execz .LBB2_55
; %bb.52:                               ;   in Loop: Header=BB2_3 Depth=1
	s_and_saveexec_b64 s[36:37], s[26:27]
; %bb.53:                               ;   in Loop: Header=BB2_3 Depth=1
	ds_write_b32 v29, v33
; %bb.54:                               ;   in Loop: Header=BB2_3 Depth=1
	s_or_b64 exec, exec, s[36:37]
.LBB2_55:                               ;   in Loop: Header=BB2_3 Depth=1
	s_andn2_saveexec_b64 s[36:37], s[34:35]
	s_cbranch_execz .LBB2_57
; %bb.56:                               ;   in Loop: Header=BB2_3 Depth=1
	v_mul_lo_u32 v0, s41, v49
	v_mov_b32_e32 v2, s47
	v_add_u32_e32 v0, v0, v32
	v_ashrrev_i32_e32 v1, 31, v0
	v_lshlrev_b64 v[0:1], 2, v[0:1]
	v_add_co_u32_e64 v0, s[34:35], s46, v0
	v_addc_co_u32_e64 v1, s[34:35], v2, v1, s[34:35]
	global_load_dword v0, v[0:1], off
	s_waitcnt vmcnt(0)
	ds_write_b32 v29, v0
.LBB2_57:                               ;   in Loop: Header=BB2_3 Depth=1
	s_or_b64 exec, exec, s[36:37]
	v_add_u32_e32 v0, s52, v30
	v_cmp_gt_i32_e64 s[34:35], s42, v0
	s_and_b64 s[34:35], s[34:35], vcc
	s_and_b64 s[34:35], s[34:35], s[30:31]
	s_xor_b64 s[34:35], s[34:35], -1
	s_and_saveexec_b64 s[36:37], s[34:35]
	s_xor_b64 s[34:35], exec, s[36:37]
	s_cbranch_execz .LBB2_61
; %bb.58:                               ;   in Loop: Header=BB2_3 Depth=1
	s_and_saveexec_b64 s[36:37], s[30:31]
; %bb.59:                               ;   in Loop: Header=BB2_3 Depth=1
	ds_write_b32 v31, v33
; %bb.60:                               ;   in Loop: Header=BB2_3 Depth=1
	s_or_b64 exec, exec, s[36:37]
.LBB2_61:                               ;   in Loop: Header=BB2_3 Depth=1
	s_andn2_saveexec_b64 s[36:37], s[34:35]
	s_cbranch_execz .LBB2_2
; %bb.62:                               ;   in Loop: Header=BB2_3 Depth=1
	v_mul_lo_u32 v0, s41, v30
	v_mov_b32_e32 v2, s47
	v_add_u32_e32 v0, v0, v32
	v_ashrrev_i32_e32 v1, 31, v0
	v_lshlrev_b64 v[0:1], 2, v[0:1]
	v_add_co_u32_e64 v0, s[34:35], s46, v0
	v_addc_co_u32_e64 v1, s[34:35], v2, v1, s[34:35]
	global_load_dword v0, v[0:1], off
	s_waitcnt vmcnt(0)
	ds_write_b32 v31, v0
	s_branch .LBB2_2
.LBB2_63:
	v_mov_b32_e32 v37, 0
	v_mov_b32_e32 v38, 0
	v_mov_b32_e32 v39, 0
	v_mov_b32_e32 v40, 0
	v_mov_b32_e32 v41, 0
	v_mov_b32_e32 v42, 0
	v_mov_b32_e32 v43, 0
	v_mov_b32_e32 v44, 0
	v_mov_b32_e32 v45, 0
	v_mov_b32_e32 v46, 0
	v_mov_b32_e32 v47, 0
	v_mov_b32_e32 v50, 0
	v_mov_b32_e32 v51, 0
	v_mov_b32_e32 v52, 0
	v_mov_b32_e32 v55, 0
	v_mov_b32_e32 v59, 0
.LBB2_64:
	buffer_load_dword v0, off, s[56:59], 0 offset:68 ; 4-byte Folded Reload
	s_waitcnt vmcnt(0)
	v_add_u32_e32 v1, s33, v0
	buffer_load_dword v0, off, s[56:59], 0 offset:72 ; 4-byte Folded Reload
	v_mul_lo_u32 v2, v1, s41
	v_cmp_gt_i32_e64 s[6:7], s40, v1
	s_waitcnt vmcnt(0)
	v_or_b32_e32 v0, s43, v0
	v_cmp_gt_i32_e32 vcc, s41, v0
	s_and_b64 s[0:1], s[6:7], vcc
	s_and_saveexec_b64 s[2:3], s[0:1]
	s_cbranch_execz .LBB2_66
; %bb.65:
	v_add_u32_e32 v3, v0, v2
	v_ashrrev_i32_e32 v4, 31, v3
	v_lshlrev_b64 v[3:4], 2, v[3:4]
	v_mov_b32_e32 v5, s39
	v_add_co_u32_e64 v3, s[0:1], s38, v3
	v_addc_co_u32_e64 v4, s[0:1], v5, v4, s[0:1]
	global_store_dword v[3:4], v59, off
.LBB2_66:
	s_or_b64 exec, exec, s[2:3]
	v_or_b32_e32 v3, 1, v0
	v_cmp_gt_i32_e64 s[0:1], s41, v3
	s_and_b64 s[2:3], s[6:7], s[0:1]
	s_and_saveexec_b64 s[4:5], s[2:3]
	s_cbranch_execz .LBB2_68
; %bb.67:
	v_ashrrev_i32_e32 v4, 31, v2
	v_ashrrev_i32_e32 v5, 31, v0
	v_add_co_u32_e64 v3, s[2:3], v0, v2
	v_addc_co_u32_e64 v4, s[2:3], v5, v4, s[2:3]
	v_lshlrev_b64 v[3:4], 2, v[3:4]
	v_mov_b32_e32 v5, s39
	v_add_co_u32_e64 v3, s[2:3], s38, v3
	v_addc_co_u32_e64 v4, s[2:3], v5, v4, s[2:3]
	global_store_dword v[3:4], v55, off offset:4
.LBB2_68:
	s_or_b64 exec, exec, s[4:5]
	v_or_b32_e32 v3, 2, v0
	v_cmp_gt_i32_e64 s[2:3], s41, v3
	s_and_b64 s[4:5], s[6:7], s[2:3]
	s_and_saveexec_b64 s[8:9], s[4:5]
	s_cbranch_execz .LBB2_70
; %bb.69:
	v_ashrrev_i32_e32 v4, 31, v2
	v_ashrrev_i32_e32 v5, 31, v0
	v_add_co_u32_e64 v3, s[4:5], v0, v2
	v_addc_co_u32_e64 v4, s[4:5], v5, v4, s[4:5]
	v_lshlrev_b64 v[3:4], 2, v[3:4]
	v_mov_b32_e32 v5, s39
	v_add_co_u32_e64 v3, s[4:5], s38, v3
	v_addc_co_u32_e64 v4, s[4:5], v5, v4, s[4:5]
	global_store_dword v[3:4], v52, off offset:8
.LBB2_70:
	;; [unrolled: 17-line block ×3, first 2 shown]
	s_or_b64 exec, exec, s[8:9]
	v_or_b32_e32 v3, 1, v1
	v_cmp_gt_i32_e64 s[6:7], s40, v3
	v_add_u32_e32 v2, s41, v2
	s_and_b64 s[8:9], s[6:7], vcc
	s_and_saveexec_b64 s[10:11], s[8:9]
	s_cbranch_execnz .LBB2_87
; %bb.73:
	s_or_b64 exec, exec, s[10:11]
	s_and_b64 s[8:9], s[6:7], s[0:1]
	s_and_saveexec_b64 s[10:11], s[8:9]
	s_cbranch_execnz .LBB2_88
.LBB2_74:
	s_or_b64 exec, exec, s[10:11]
	s_and_b64 s[8:9], s[6:7], s[2:3]
	s_and_saveexec_b64 s[10:11], s[8:9]
	s_cbranch_execnz .LBB2_89
.LBB2_75:
	s_or_b64 exec, exec, s[10:11]
	s_and_b64 s[6:7], s[6:7], s[4:5]
	s_and_saveexec_b64 s[8:9], s[6:7]
	s_cbranch_execz .LBB2_77
.LBB2_76:
	v_ashrrev_i32_e32 v4, 31, v2
	v_ashrrev_i32_e32 v5, 31, v0
	v_add_co_u32_e64 v3, s[6:7], v0, v2
	v_addc_co_u32_e64 v4, s[6:7], v5, v4, s[6:7]
	v_lshlrev_b64 v[3:4], 2, v[3:4]
	v_mov_b32_e32 v5, s39
	v_add_co_u32_e64 v3, s[6:7], s38, v3
	v_addc_co_u32_e64 v4, s[6:7], v5, v4, s[6:7]
	global_store_dword v[3:4], v45, off offset:12
.LBB2_77:
	s_or_b64 exec, exec, s[8:9]
	v_or_b32_e32 v3, 2, v1
	v_cmp_gt_i32_e64 s[6:7], s40, v3
	v_add_u32_e32 v2, s41, v2
	s_and_b64 s[8:9], s[6:7], vcc
	s_and_saveexec_b64 s[10:11], s[8:9]
	s_cbranch_execnz .LBB2_90
; %bb.78:
	s_or_b64 exec, exec, s[10:11]
	s_and_b64 s[8:9], s[6:7], s[0:1]
	s_and_saveexec_b64 s[10:11], s[8:9]
	s_cbranch_execnz .LBB2_91
.LBB2_79:
	s_or_b64 exec, exec, s[10:11]
	s_and_b64 s[8:9], s[6:7], s[2:3]
	s_and_saveexec_b64 s[10:11], s[8:9]
	s_cbranch_execnz .LBB2_92
.LBB2_80:
	s_or_b64 exec, exec, s[10:11]
	s_and_b64 s[6:7], s[6:7], s[4:5]
	s_and_saveexec_b64 s[8:9], s[6:7]
	s_cbranch_execz .LBB2_82
.LBB2_81:
	v_ashrrev_i32_e32 v4, 31, v2
	v_ashrrev_i32_e32 v5, 31, v0
	v_add_co_u32_e64 v3, s[6:7], v0, v2
	v_addc_co_u32_e64 v4, s[6:7], v5, v4, s[6:7]
	v_lshlrev_b64 v[3:4], 2, v[3:4]
	v_mov_b32_e32 v5, s39
	v_add_co_u32_e64 v3, s[6:7], s38, v3
	v_addc_co_u32_e64 v4, s[6:7], v5, v4, s[6:7]
	global_store_dword v[3:4], v41, off offset:12
.LBB2_82:
	s_or_b64 exec, exec, s[8:9]
	v_or_b32_e32 v1, 3, v1
	v_cmp_gt_i32_e64 s[6:7], s40, v1
	v_add_u32_e32 v1, s41, v2
	s_and_b64 s[10:11], s[6:7], vcc
	s_and_saveexec_b64 s[8:9], s[10:11]
	s_cbranch_execnz .LBB2_93
; %bb.83:
	s_or_b64 exec, exec, s[8:9]
	s_and_b64 s[8:9], s[6:7], s[0:1]
	s_and_saveexec_b64 s[0:1], s[8:9]
	s_cbranch_execnz .LBB2_94
.LBB2_84:
	s_or_b64 exec, exec, s[0:1]
	s_and_b64 s[2:3], s[6:7], s[2:3]
	s_and_saveexec_b64 s[0:1], s[2:3]
	s_cbranch_execnz .LBB2_95
.LBB2_85:
	s_or_b64 exec, exec, s[0:1]
	s_and_b64 s[0:1], s[6:7], s[4:5]
	s_and_saveexec_b64 s[2:3], s[0:1]
	s_cbranch_execnz .LBB2_96
.LBB2_86:
	s_endpgm
.LBB2_87:
	v_add_u32_e32 v3, v0, v2
	v_ashrrev_i32_e32 v4, 31, v3
	v_lshlrev_b64 v[3:4], 2, v[3:4]
	v_mov_b32_e32 v5, s39
	v_add_co_u32_e64 v3, s[8:9], s38, v3
	v_addc_co_u32_e64 v4, s[8:9], v5, v4, s[8:9]
	global_store_dword v[3:4], v50, off
	s_or_b64 exec, exec, s[10:11]
	s_and_b64 s[8:9], s[6:7], s[0:1]
	s_and_saveexec_b64 s[10:11], s[8:9]
	s_cbranch_execz .LBB2_74
.LBB2_88:
	v_ashrrev_i32_e32 v4, 31, v2
	v_ashrrev_i32_e32 v5, 31, v0
	v_add_co_u32_e64 v3, s[8:9], v0, v2
	v_addc_co_u32_e64 v4, s[8:9], v5, v4, s[8:9]
	v_lshlrev_b64 v[3:4], 2, v[3:4]
	v_mov_b32_e32 v5, s39
	v_add_co_u32_e64 v3, s[8:9], s38, v3
	v_addc_co_u32_e64 v4, s[8:9], v5, v4, s[8:9]
	global_store_dword v[3:4], v47, off offset:4
	s_or_b64 exec, exec, s[10:11]
	s_and_b64 s[8:9], s[6:7], s[2:3]
	s_and_saveexec_b64 s[10:11], s[8:9]
	s_cbranch_execz .LBB2_75
.LBB2_89:
	v_ashrrev_i32_e32 v4, 31, v2
	v_ashrrev_i32_e32 v5, 31, v0
	v_add_co_u32_e64 v3, s[8:9], v0, v2
	v_addc_co_u32_e64 v4, s[8:9], v5, v4, s[8:9]
	v_lshlrev_b64 v[3:4], 2, v[3:4]
	v_mov_b32_e32 v5, s39
	v_add_co_u32_e64 v3, s[8:9], s38, v3
	v_addc_co_u32_e64 v4, s[8:9], v5, v4, s[8:9]
	global_store_dword v[3:4], v46, off offset:8
	s_or_b64 exec, exec, s[10:11]
	s_and_b64 s[6:7], s[6:7], s[4:5]
	s_and_saveexec_b64 s[8:9], s[6:7]
	s_cbranch_execnz .LBB2_76
	s_branch .LBB2_77
.LBB2_90:
	v_add_u32_e32 v3, v0, v2
	v_ashrrev_i32_e32 v4, 31, v3
	v_lshlrev_b64 v[3:4], 2, v[3:4]
	v_mov_b32_e32 v5, s39
	v_add_co_u32_e64 v3, s[8:9], s38, v3
	v_addc_co_u32_e64 v4, s[8:9], v5, v4, s[8:9]
	global_store_dword v[3:4], v44, off
	s_or_b64 exec, exec, s[10:11]
	s_and_b64 s[8:9], s[6:7], s[0:1]
	s_and_saveexec_b64 s[10:11], s[8:9]
	s_cbranch_execz .LBB2_79
.LBB2_91:
	v_ashrrev_i32_e32 v4, 31, v2
	v_ashrrev_i32_e32 v5, 31, v0
	v_add_co_u32_e64 v3, s[8:9], v0, v2
	v_addc_co_u32_e64 v4, s[8:9], v5, v4, s[8:9]
	v_lshlrev_b64 v[3:4], 2, v[3:4]
	v_mov_b32_e32 v5, s39
	v_add_co_u32_e64 v3, s[8:9], s38, v3
	v_addc_co_u32_e64 v4, s[8:9], v5, v4, s[8:9]
	global_store_dword v[3:4], v43, off offset:4
	s_or_b64 exec, exec, s[10:11]
	s_and_b64 s[8:9], s[6:7], s[2:3]
	s_and_saveexec_b64 s[10:11], s[8:9]
	s_cbranch_execz .LBB2_80
.LBB2_92:
	v_ashrrev_i32_e32 v4, 31, v2
	v_ashrrev_i32_e32 v5, 31, v0
	v_add_co_u32_e64 v3, s[8:9], v0, v2
	v_addc_co_u32_e64 v4, s[8:9], v5, v4, s[8:9]
	v_lshlrev_b64 v[3:4], 2, v[3:4]
	v_mov_b32_e32 v5, s39
	v_add_co_u32_e64 v3, s[8:9], s38, v3
	v_addc_co_u32_e64 v4, s[8:9], v5, v4, s[8:9]
	global_store_dword v[3:4], v42, off offset:8
	s_or_b64 exec, exec, s[10:11]
	s_and_b64 s[6:7], s[6:7], s[4:5]
	s_and_saveexec_b64 s[8:9], s[6:7]
	s_cbranch_execnz .LBB2_81
	s_branch .LBB2_82
.LBB2_93:
	v_add_u32_e32 v2, v0, v1
	v_ashrrev_i32_e32 v3, 31, v2
	v_lshlrev_b64 v[2:3], 2, v[2:3]
	v_mov_b32_e32 v4, s39
	v_add_co_u32_e32 v2, vcc, s38, v2
	v_addc_co_u32_e32 v3, vcc, v4, v3, vcc
	global_store_dword v[2:3], v40, off
	s_or_b64 exec, exec, s[8:9]
	s_and_b64 s[8:9], s[6:7], s[0:1]
	s_and_saveexec_b64 s[0:1], s[8:9]
	s_cbranch_execz .LBB2_84
.LBB2_94:
	v_ashrrev_i32_e32 v3, 31, v1
	v_ashrrev_i32_e32 v4, 31, v0
	v_add_co_u32_e32 v2, vcc, v0, v1
	v_addc_co_u32_e32 v3, vcc, v4, v3, vcc
	v_lshlrev_b64 v[2:3], 2, v[2:3]
	v_mov_b32_e32 v4, s39
	v_add_co_u32_e32 v2, vcc, s38, v2
	v_addc_co_u32_e32 v3, vcc, v4, v3, vcc
	global_store_dword v[2:3], v39, off offset:4
	s_or_b64 exec, exec, s[0:1]
	s_and_b64 s[2:3], s[6:7], s[2:3]
	s_and_saveexec_b64 s[0:1], s[2:3]
	s_cbranch_execz .LBB2_85
.LBB2_95:
	v_ashrrev_i32_e32 v3, 31, v1
	v_ashrrev_i32_e32 v4, 31, v0
	v_add_co_u32_e32 v2, vcc, v0, v1
	v_addc_co_u32_e32 v3, vcc, v4, v3, vcc
	v_lshlrev_b64 v[2:3], 2, v[2:3]
	v_mov_b32_e32 v4, s39
	v_add_co_u32_e32 v2, vcc, s38, v2
	v_addc_co_u32_e32 v3, vcc, v4, v3, vcc
	global_store_dword v[2:3], v38, off offset:8
	s_or_b64 exec, exec, s[0:1]
	s_and_b64 s[0:1], s[6:7], s[4:5]
	s_and_saveexec_b64 s[2:3], s[0:1]
	s_cbranch_execz .LBB2_86
.LBB2_96:
	v_ashrrev_i32_e32 v2, 31, v1
	v_ashrrev_i32_e32 v3, 31, v0
	v_add_co_u32_e32 v0, vcc, v0, v1
	v_addc_co_u32_e32 v1, vcc, v3, v2, vcc
	v_lshlrev_b64 v[0:1], 2, v[0:1]
	v_mov_b32_e32 v2, s39
	v_add_co_u32_e32 v0, vcc, s38, v0
	v_addc_co_u32_e32 v1, vcc, v2, v1, vcc
	global_store_dword v[0:1], v37, off offset:12
	s_endpgm
	.section	.rodata,"a",@progbits
	.p2align	6, 0x0
	.amdhsa_kernel _Z31matrix_multiply_register_tilingPfS_S_iii
		.amdhsa_group_segment_fixed_size 12288
		.amdhsa_private_segment_fixed_size 80
		.amdhsa_kernarg_size 296
		.amdhsa_user_sgpr_count 6
		.amdhsa_user_sgpr_private_segment_buffer 1
		.amdhsa_user_sgpr_dispatch_ptr 0
		.amdhsa_user_sgpr_queue_ptr 0
		.amdhsa_user_sgpr_kernarg_segment_ptr 1
		.amdhsa_user_sgpr_dispatch_id 0
		.amdhsa_user_sgpr_flat_scratch_init 0
		.amdhsa_user_sgpr_private_segment_size 0
		.amdhsa_uses_dynamic_stack 0
		.amdhsa_system_sgpr_private_segment_wavefront_offset 1
		.amdhsa_system_sgpr_workgroup_id_x 1
		.amdhsa_system_sgpr_workgroup_id_y 1
		.amdhsa_system_sgpr_workgroup_id_z 0
		.amdhsa_system_sgpr_workgroup_info 0
		.amdhsa_system_vgpr_workitem_id 1
		.amdhsa_next_free_vgpr 64
		.amdhsa_next_free_sgpr 61
		.amdhsa_reserve_vcc 1
		.amdhsa_reserve_flat_scratch 0
		.amdhsa_float_round_mode_32 0
		.amdhsa_float_round_mode_16_64 0
		.amdhsa_float_denorm_mode_32 3
		.amdhsa_float_denorm_mode_16_64 3
		.amdhsa_dx10_clamp 1
		.amdhsa_ieee_mode 1
		.amdhsa_fp16_overflow 0
		.amdhsa_exception_fp_ieee_invalid_op 0
		.amdhsa_exception_fp_denorm_src 0
		.amdhsa_exception_fp_ieee_div_zero 0
		.amdhsa_exception_fp_ieee_overflow 0
		.amdhsa_exception_fp_ieee_underflow 0
		.amdhsa_exception_fp_ieee_inexact 0
		.amdhsa_exception_int_div_zero 0
	.end_amdhsa_kernel
	.text
.Lfunc_end2:
	.size	_Z31matrix_multiply_register_tilingPfS_S_iii, .Lfunc_end2-_Z31matrix_multiply_register_tilingPfS_S_iii
                                        ; -- End function
	.set _Z31matrix_multiply_register_tilingPfS_S_iii.num_vgpr, 64
	.set _Z31matrix_multiply_register_tilingPfS_S_iii.num_agpr, 0
	.set _Z31matrix_multiply_register_tilingPfS_S_iii.numbered_sgpr, 60
	.set _Z31matrix_multiply_register_tilingPfS_S_iii.num_named_barrier, 0
	.set _Z31matrix_multiply_register_tilingPfS_S_iii.private_seg_size, 80
	.set _Z31matrix_multiply_register_tilingPfS_S_iii.uses_vcc, 1
	.set _Z31matrix_multiply_register_tilingPfS_S_iii.uses_flat_scratch, 0
	.set _Z31matrix_multiply_register_tilingPfS_S_iii.has_dyn_sized_stack, 0
	.set _Z31matrix_multiply_register_tilingPfS_S_iii.has_recursion, 0
	.set _Z31matrix_multiply_register_tilingPfS_S_iii.has_indirect_call, 0
	.section	.AMDGPU.csdata,"",@progbits
; Kernel info:
; codeLenInByte = 5124
; TotalNumSgprs: 64
; NumVgprs: 64
; ScratchSize: 80
; MemoryBound: 0
; FloatMode: 240
; IeeeMode: 1
; LDSByteSize: 12288 bytes/workgroup (compile time only)
; SGPRBlocks: 8
; VGPRBlocks: 15
; NumSGPRsForWavesPerEU: 65
; NumVGPRsForWavesPerEU: 64
; Occupancy: 4
; WaveLimiterHint : 0
; COMPUTE_PGM_RSRC2:SCRATCH_EN: 1
; COMPUTE_PGM_RSRC2:USER_SGPR: 6
; COMPUTE_PGM_RSRC2:TRAP_HANDLER: 0
; COMPUTE_PGM_RSRC2:TGID_X_EN: 1
; COMPUTE_PGM_RSRC2:TGID_Y_EN: 1
; COMPUTE_PGM_RSRC2:TGID_Z_EN: 0
; COMPUTE_PGM_RSRC2:TIDIG_COMP_CNT: 1
	.section	.AMDGPU.gpr_maximums,"",@progbits
	.set amdgpu.max_num_vgpr, 0
	.set amdgpu.max_num_agpr, 0
	.set amdgpu.max_num_sgpr, 0
	.section	.AMDGPU.csdata,"",@progbits
	.type	__hip_cuid_948c98c2c5a920d7,@object ; @__hip_cuid_948c98c2c5a920d7
	.section	.bss,"aw",@nobits
	.globl	__hip_cuid_948c98c2c5a920d7
__hip_cuid_948c98c2c5a920d7:
	.byte	0                               ; 0x0
	.size	__hip_cuid_948c98c2c5a920d7, 1

	.ident	"AMD clang version 22.0.0git (https://github.com/RadeonOpenCompute/llvm-project roc-7.2.4 26084 f58b06dce1f9c15707c5f808fd002e18c2accf7e)"
	.section	".note.GNU-stack","",@progbits
	.addrsig
	.addrsig_sym __hip_cuid_948c98c2c5a920d7
	.amdgpu_metadata
---
amdhsa.kernels:
  - .args:
      - .address_space:  global
        .offset:         0
        .size:           8
        .value_kind:     global_buffer
      - .address_space:  global
        .offset:         8
        .size:           8
        .value_kind:     global_buffer
      - .address_space:  global
        .offset:         16
        .size:           8
        .value_kind:     global_buffer
      - .offset:         24
        .size:           4
        .value_kind:     by_value
      - .offset:         28
        .size:           4
        .value_kind:     by_value
      - .offset:         32
        .size:           4
        .value_kind:     by_value
      - .offset:         40
        .size:           4
        .value_kind:     hidden_block_count_x
      - .offset:         44
        .size:           4
        .value_kind:     hidden_block_count_y
      - .offset:         48
        .size:           4
        .value_kind:     hidden_block_count_z
      - .offset:         52
        .size:           2
        .value_kind:     hidden_group_size_x
      - .offset:         54
        .size:           2
        .value_kind:     hidden_group_size_y
      - .offset:         56
        .size:           2
        .value_kind:     hidden_group_size_z
      - .offset:         58
        .size:           2
        .value_kind:     hidden_remainder_x
      - .offset:         60
        .size:           2
        .value_kind:     hidden_remainder_y
      - .offset:         62
        .size:           2
        .value_kind:     hidden_remainder_z
      - .offset:         80
        .size:           8
        .value_kind:     hidden_global_offset_x
      - .offset:         88
        .size:           8
        .value_kind:     hidden_global_offset_y
      - .offset:         96
        .size:           8
        .value_kind:     hidden_global_offset_z
      - .offset:         104
        .size:           2
        .value_kind:     hidden_grid_dims
    .group_segment_fixed_size: 0
    .kernarg_segment_align: 8
    .kernarg_segment_size: 296
    .language:       OpenCL C
    .language_version:
      - 2
      - 0
    .max_flat_workgroup_size: 1024
    .name:           _Z21matrix_multiply_naivePfS_S_iii
    .private_segment_fixed_size: 0
    .sgpr_count:     16
    .sgpr_spill_count: 0
    .symbol:         _Z21matrix_multiply_naivePfS_S_iii.kd
    .uniform_work_group_size: 1
    .uses_dynamic_stack: false
    .vgpr_count:     11
    .vgpr_spill_count: 0
    .wavefront_size: 64
  - .args:
      - .address_space:  global
        .offset:         0
        .size:           8
        .value_kind:     global_buffer
      - .address_space:  global
        .offset:         8
        .size:           8
        .value_kind:     global_buffer
      - .address_space:  global
        .offset:         16
        .size:           8
        .value_kind:     global_buffer
      - .offset:         24
        .size:           4
        .value_kind:     by_value
      - .offset:         28
        .size:           4
        .value_kind:     by_value
      - .offset:         32
        .size:           4
        .value_kind:     by_value
    .group_segment_fixed_size: 2048
    .kernarg_segment_align: 8
    .kernarg_segment_size: 36
    .language:       OpenCL C
    .language_version:
      - 2
      - 0
    .max_flat_workgroup_size: 1024
    .name:           _Z26matrix_multiply_lds_tilingPfS_S_iii
    .private_segment_fixed_size: 0
    .sgpr_count:     22
    .sgpr_spill_count: 0
    .symbol:         _Z26matrix_multiply_lds_tilingPfS_S_iii.kd
    .uniform_work_group_size: 1
    .uses_dynamic_stack: false
    .vgpr_count:     30
    .vgpr_spill_count: 0
    .wavefront_size: 64
  - .args:
      - .address_space:  global
        .offset:         0
        .size:           8
        .value_kind:     global_buffer
      - .address_space:  global
        .offset:         8
        .size:           8
        .value_kind:     global_buffer
      - .address_space:  global
        .offset:         16
        .size:           8
        .value_kind:     global_buffer
      - .offset:         24
        .size:           4
        .value_kind:     by_value
      - .offset:         28
        .size:           4
        .value_kind:     by_value
      - .offset:         32
        .size:           4
        .value_kind:     by_value
      - .offset:         40
        .size:           4
        .value_kind:     hidden_block_count_x
      - .offset:         44
        .size:           4
        .value_kind:     hidden_block_count_y
      - .offset:         48
        .size:           4
        .value_kind:     hidden_block_count_z
      - .offset:         52
        .size:           2
        .value_kind:     hidden_group_size_x
      - .offset:         54
        .size:           2
        .value_kind:     hidden_group_size_y
      - .offset:         56
        .size:           2
        .value_kind:     hidden_group_size_z
      - .offset:         58
        .size:           2
        .value_kind:     hidden_remainder_x
      - .offset:         60
        .size:           2
        .value_kind:     hidden_remainder_y
      - .offset:         62
        .size:           2
        .value_kind:     hidden_remainder_z
      - .offset:         80
        .size:           8
        .value_kind:     hidden_global_offset_x
      - .offset:         88
        .size:           8
        .value_kind:     hidden_global_offset_y
      - .offset:         96
        .size:           8
        .value_kind:     hidden_global_offset_z
      - .offset:         104
        .size:           2
        .value_kind:     hidden_grid_dims
    .group_segment_fixed_size: 12288
    .kernarg_segment_align: 8
    .kernarg_segment_size: 296
    .language:       OpenCL C
    .language_version:
      - 2
      - 0
    .max_flat_workgroup_size: 1024
    .name:           _Z31matrix_multiply_register_tilingPfS_S_iii
    .private_segment_fixed_size: 80
    .sgpr_count:     64
    .sgpr_spill_count: 0
    .symbol:         _Z31matrix_multiply_register_tilingPfS_S_iii.kd
    .uniform_work_group_size: 1
    .uses_dynamic_stack: false
    .vgpr_count:     64
    .vgpr_spill_count: 19
    .wavefront_size: 64
amdhsa.target:   amdgcn-amd-amdhsa--gfx906
amdhsa.version:
  - 1
  - 2
...

	.end_amdgpu_metadata
